;; amdgpu-corpus repo=ROCm/aiter kind=harvested arch=n/a opt=n/a

/root/src/amdgpu-assembly/repos/ROCm__aiter/hsa/gfx942/fmha_v3_bwd/bwd_hd192_dq_convert_bf16_rtna_group.co:	file format elf64-amdgpu

Disassembly of section .text:

0000000000002100 <_ZN5aiter41fmha_bwd_hd192_dq_convert_bf16_rtna_groupE>:
	s_and_b32 s1, s1, 0xffff                                   // 000000002100: 8601FF01 0000FFFF
	s_load_dwordx2 s[12:13], s[0:1], 0x0                       // 000000002108: C0060300 00000000
	s_load_dwordx2 s[16:17], s[0:1], 0x10                      // 000000002110: C0060400 00000010
	s_load_dword s6, s[0:1], 0x20                              // 000000002118: C0020180 00000020
	s_load_dword s8, s[0:1], 0x40                              // 000000002120: C0020200 00000040
	s_load_dword s9, s[0:1], 0x50                              // 000000002128: C0020240 00000050
	s_load_dword s11, s[0:1], 0x70                             // 000000002130: C00202C0 00000070
	s_load_dword s34, s[0:1], 0x90                             // 000000002138: C0020880 00000090
	s_load_dwordx2 s[40:41], s[0:1], 0xa0                      // 000000002140: C0060A00 000000A0
	s_load_dwordx2 s[44:45], s[0:1], 0xb0                      // 000000002148: C0060B00 000000B0
	v_lshrrev_b32_e32 v1, 10, v0                               // 000000002150: 2002008A
	v_lshrrev_b32_e32 v2, 10, v1                               // 000000002154: 2004028A
	v_and_b32_e32 v2, 0x3ff, v2                                // 000000002158: 260404FF 000003FF
	v_and_b32_e32 v1, 0x3ff, v1                                // 000000002160: 260202FF 000003FF
	v_and_b32_e32 v0, 0x3ff, v0                                // 000000002168: 260000FF 000003FF
	v_lshrrev_b32_e32 v3, 6, v0                                // 000000002170: 20060086
	v_and_b32_e32 v0, 63, v0                                   // 000000002174: 260000BF
	s_mov_b32 s2, s2                                           // 000000002178: BE820002
	s_mov_b32 s3, s3                                           // 00000000217C: BE830003
	s_mov_b32 s4, s4                                           // 000000002180: BE840004
	v_readfirstlane_b32 s24, v3                                // 000000002184: 7E300503
	s_waitcnt lgkmcnt(0)                                       // 000000002188: BF8CC07F
	s_mul_i32 s25, s4, 4                                       // 00000000218C: 92198404
	s_add_u32 s40, s25, s40                                    // 000000002190: 80282819
	s_addc_u32 s41, 0, s41                                     // 000000002194: 82292980
	s_load_dwordx2 s[42:43], s[40:41], 0x0                     // 000000002198: C0060A94 00000000
	s_add_u32 s44, s25, s44                                    // 0000000021A0: 802C2C19
	s_addc_u32 s45, 0, s45                                     // 0000000021A4: 822D2D80
	s_load_dword s46, s[44:45], 0x0                            // 0000000021A8: C0020B96 00000000
	s_mov_b32 s15, 0x20000                                     // 0000000021B0: BE8F00FF 00020000
	s_mov_b32 s19, 0x20000                                     // 0000000021B8: BE9300FF 00020000
	s_and_b32 s13, s13, 0xffff                                 // 0000000021C0: 860DFF0D 0000FFFF
	s_and_b32 s17, s17, 0xffff                                 // 0000000021C8: 8611FF11 0000FFFF
	s_or_b32 s13, s13, 0x40000                                 // 0000000021D0: 870DFF0D 00040000
	s_or_b32 s17, s17, 0x40000                                 // 0000000021D8: 8711FF11 00040000
	v_mov_b32_e32 v33, 0                                       // 0000000021E0: 7E420280
	s_mov_b32 s20, s12                                         // 0000000021E4: BE94000C
	s_mov_b32 s21, s13                                         // 0000000021E8: BE95000D
	s_mov_b32 s22, s16                                         // 0000000021EC: BE960010
	s_mov_b32 s23, s17                                         // 0000000021F0: BE970011
	s_waitcnt lgkmcnt(0)                                       // 0000000021F4: BF8CC07F
	s_mul_i32 s25, s2, 64                                      // 0000000021F8: 9219C002
	s_sub_i32 s35, s43, s42                                    // 0000000021FC: 81A32A2B
	s_mov_b32 s42, s46                                         // 000000002200: BEAA002E
	s_cmp_ge_i32 s25, s35                                      // 000000002204: BF032319
	s_cbranch_scc1 label_0477                                  // 000000002208: BF850434
	s_mov_b32 s38, 0x7060302                                   // 00000000220C: BEA600FF 07060302
	s_mul_i32 s25, s8, 64                                      // 000000002214: 9219C008
	s_mul_i32 s25, s2, s25                                     // 000000002218: 92191902
	s_mul_i32 s26, s35, s8                                     // 00000000221C: 921A0823
	s_sub_i32 s26, s26, s25                                    // 000000002220: 819A191A
	s_mov_b32 s14, s26                                         // 000000002224: BE8E001A
	s_add_u32 s12, s25, s20                                    // 000000002228: 800C1419
	s_addc_u32 s13, 0, s21                                     // 00000000222C: 820D1580
	s_mul_i32 s25, s3, s6                                      // 000000002230: 92190603
	s_mul_hi_u32 s26, s3, s6                                   // 000000002234: 961A0603
	s_and_b32 s26, s26, 0xffff                                 // 000000002238: 861AFF1A 0000FFFF
	s_add_u32 s12, s12, s25                                    // 000000002240: 800C190C
	s_addc_u32 s13, s13, s26                                   // 000000002244: 820D1A0D
	s_mul_i32 s25, s42, s8                                     // 000000002248: 9219082A
	s_mul_hi_u32 s26, s42, s8                                  // 00000000224C: 961A082A
	s_and_b32 s26, s26, 0xffff                                 // 000000002250: 861AFF1A 0000FFFF
	s_add_u32 s12, s12, s25                                    // 000000002258: 800C190C
	s_addc_u32 s13, s13, s26                                   // 00000000225C: 820D1A0D
	s_mul_i32 s25, s11, 64                                     // 000000002260: 9219C00B
	s_mul_i32 s25, s2, s25                                     // 000000002264: 92191902
	s_mul_i32 s26, s35, s11                                    // 000000002268: 921A0B23
	s_sub_i32 s26, s26, s25                                    // 00000000226C: 819A191A
	s_mov_b32 s18, s26                                         // 000000002270: BE92001A
	s_add_u32 s16, s25, s22                                    // 000000002274: 80101619
	s_addc_u32 s17, 0, s23                                     // 000000002278: 82111780
	s_mul_i32 s25, s3, s9                                      // 00000000227C: 92190903
	s_mul_hi_u32 s26, s3, s9                                   // 000000002280: 961A0903
	s_and_b32 s26, s26, 0xffff                                 // 000000002284: 861AFF1A 0000FFFF
	s_add_u32 s16, s16, s25                                    // 00000000228C: 80101910
	s_addc_u32 s17, s17, s26                                   // 000000002290: 82111A11
	s_mul_i32 s25, s42, s11                                    // 000000002294: 92190B2A
	s_mul_hi_u32 s26, s42, s11                                 // 000000002298: 961A0B2A
	s_and_b32 s26, s26, 0xffff                                 // 00000000229C: 861AFF1A 0000FFFF
	s_add_u32 s16, s16, s25                                    // 0000000022A4: 80101910
	s_addc_u32 s17, s17, s26                                   // 0000000022A8: 82111A11
	v_readfirstlane_b32 s24, v3                                // 0000000022AC: 7E300503
	v_lshrrev_b32_e32 v26, 4, v0                               // 0000000022B0: 20340084
	v_mul_i32_i24_e32 v26, s8, v26                             // 0000000022B4: 0C343408
	v_and_b32_e32 v27, 15, v0                                  // 0000000022B8: 2636008F
	v_mul_i32_i24_e32 v27, 16, v27                             // 0000000022BC: 0C363690
	v_add_u32_e32 v27, v26, v27                                // 0000000022C0: 6836371A
	v_mov_b32_e32 v4, v27                                      // 0000000022C4: 7E08031B
	s_mul_i32 s25, 16, s8                                      // 0000000022C8: 92190890
	s_mul_i32 s25, s24, s25                                    // 0000000022CC: 92191918
	v_add_u32_e32 v4, s25, v4                                  // 0000000022D0: 68080819
	v_mov_b32_e32 v6, 0                                        // 0000000022D4: 7E0C0280
	v_lshrrev_b32_e32 v26, 5, v0                               // 0000000022D8: 20340085
	v_lshlrev_b32_e32 v26, 1, v26                              // 0000000022DC: 24343481
	v_mul_i32_i24_e32 v26, s11, v26                            // 0000000022E0: 0C34340B
	v_and_b32_e32 v27, 15, v0                                  // 0000000022E4: 2636008F
	v_lshlrev_b32_e32 v27, 3, v27                              // 0000000022E8: 24363683
	v_and_b32_e32 v28, 31, v0                                  // 0000000022EC: 2638009F
	v_lshrrev_b32_e32 v28, 4, v28                              // 0000000022F0: 20383884
	v_lshlrev_b32_e32 v28, 2, v28                              // 0000000022F4: 24383882
	v_add_u32_e32 v6, v26, v6                                  // 0000000022F8: 680C0D1A
	v_add_u32_e32 v6, v27, v6                                  // 0000000022FC: 680C0D1B
	v_add_u32_e32 v6, v28, v6                                  // 000000002300: 680C0D1C
	s_mul_i32 s25, 16, s11                                     // 000000002304: 92190B90
	s_mul_i32 s25, s24, s25                                    // 000000002308: 92191918
	v_add_u32_e32 v6, s25, v6                                  // 00000000230C: 680C0C19
	v_and_b32_e32 v26, 15, v0                                  // 000000002310: 2634008F
	v_lshlrev_b32_e32 v26, 2, v26                              // 000000002314: 24343482
	s_sub_i32 s25, s34, 0x80                                   // 000000002318: 8199FF22 00000080
	v_cmp_lt_u32_e64 s[30:31], v26, s25                        // 000000002320: D0C9001E 0000331A
	v_and_b32_e32 v26, 15, v0                                  // 000000002328: 2634008F
	v_lshrrev_b32_e32 v26, 1, v26                              // 00000000232C: 20343481
	v_lshlrev_b32_e32 v26, 3, v26                              // 000000002330: 24343483
	s_sub_i32 s25, s34, 0x80                                   // 000000002334: 8199FF22 00000080
	v_cmp_lt_u32_e64 s[32:33], v26, s25                        // 00000000233C: D0C90020 0000331A
	v_mov_b32_e32 v30, 0xffff0000                              // 000000002344: 7E3C02FF FFFF0000
	v_mov_b32_e32 v31, 0x7fff0000                              // 00000000234C: 7E3E02FF 7FFF0000
	v_mov_b32_e32 v32, 0x7fff                                  // 000000002354: 7E4002FF 00007FFF
	s_mul_i32 s25, s8, 0                                       // 00000000235C: 92198008
	s_lshl_b32 s25, s25, 2                                     // 000000002360: 8E198219
	v_add_u32_e32 v5, s25, v4                                  // 000000002364: 680A0819
	buffer_load_dwordx4 v[8:11], v5, s[12:15], 0 offen         // 000000002368: E05C1000 80030805
	v_add_u32_e32 v5, 0x100, v5                                // 000000002370: 680A0AFF 00000100
	s_waitcnt vmcnt(0) expcnt(0) lgkmcnt(0)                    // 000000002378: BF8C0000
	s_barrier                                                  // 00000000237C: BF8A0000
	v_cmp_u_f32_e64 s[36:37], v8, v8                           // 000000002380: D0480024 00021108
	v_add3_u32 v29, v8, v32, 1                                 // 000000002388: D1FF001D 02064108
	v_cndmask_b32_e64 v26, v29, v31, s[36:37]                  // 000000002390: D100001A 00923F1D
	v_cmp_u_f32_e64 s[36:37], v9, v9                           // 000000002398: D0480024 00021309
	v_add3_u32 v29, v9, v32, 1                                 // 0000000023A0: D1FF001D 02064109
	v_cndmask_b32_e64 v27, v29, v31, s[36:37]                  // 0000000023A8: D100001B 00923F1D
	v_perm_b32 v20, v27, v26, s38                              // 0000000023B0: D1ED0014 009A351B
	v_cmp_u_f32_e64 s[36:37], v10, v10                         // 0000000023B8: D0480024 0002150A
	v_add3_u32 v29, v10, v32, 1                                // 0000000023C0: D1FF001D 0206410A
	v_cndmask_b32_e64 v26, v29, v31, s[36:37]                  // 0000000023C8: D100001A 00923F1D
	v_cmp_u_f32_e64 s[36:37], v11, v11                         // 0000000023D0: D0480024 0002170B
	v_add3_u32 v29, v11, v32, 1                                // 0000000023D8: D1FF001D 0206410B
	v_cndmask_b32_e64 v27, v29, v31, s[36:37]                  // 0000000023E0: D100001B 00923F1D
	v_perm_b32 v21, v27, v26, s38                              // 0000000023E8: D1ED0015 009A351B
	s_nop 1                                                    // 0000000023F0: BF800001
	s_mul_i32 s25, s24, 0x100                                  // 0000000023F4: 9219FF18 00000100
	s_lshl_b32 s25, s25, 2                                     // 0000000023FC: 8E198219
	v_mov_b32_e32 v26, v0                                      // 000000002400: 7E340300
	v_lshlrev_b32_e32 v26, 2, v26                              // 000000002404: 24343482
	v_add_u32_e64 v26, v26, s25                                // 000000002408: D134001A 0000331A
	v_add_u32_e32 v27, 0x100, v26                              // 000000002410: 683634FF 00000100
	ds_write_b32 v26, v20                                      // 000000002418: D81A0000 0000141A
	ds_write_b32 v27, v21                                      // 000000002420: D81A0000 0000151B
	s_barrier                                                  // 000000002428: BF8A0000
	v_lshrrev_b32_e32 v26, 4, v0                               // 00000000242C: 20340084
	v_and_b32_e64 v27, v26, 1                                  // 000000002430: D113001B 0001031A
	v_lshrrev_b32_e32 v28, 1, v26                              // 000000002438: 20383481
	v_lshlrev_b32_e32 v26, 1, v27                              // 00000000243C: 24343681
	v_add_u32_e32 v26, v26, v28                                // 000000002440: 6834391A
	v_lshlrev_b32_e32 v26, 7, v26                              // 000000002444: 24343487
	v_and_b32_e64 v27, v0, 15                                  // 000000002448: D113001B 00011F00
	v_lshlrev_b32_e32 v27, 2, v27                              // 000000002450: 24363682
	v_add_u32_e32 v26, v27, v26                                // 000000002454: 6834351B
	v_add_u32_e64 v26, v26, s25                                // 000000002458: D134001A 0000331A
	v_add_u32_e32 v27, 64, v26                                 // 000000002460: 683634C0
	ds_read_b32 v20, v26                                       // 000000002464: D86C0000 1400001A
	ds_read_b32 v21, v27                                       // 00000000246C: D86C0000 1500001B
	s_barrier                                                  // 000000002474: BF8A0000
	s_nop 1                                                    // 000000002478: BF800001
	s_mul_i32 s25, s11, 0                                      // 00000000247C: 9219800B
	s_lshl_b32 s25, s25, 2                                     // 000000002480: 8E198219
	s_lshl_b32 s26, 0, 7                                       // 000000002484: 8E1A8780
	v_add_u32_e32 v7, s25, v6                                  // 000000002488: 680E0C19
	v_add_u32_e32 v7, s26, v7                                  // 00000000248C: 680E0E1A
	buffer_store_dword v20, v7, s[16:19], 0 offen              // 000000002490: E0701000 80041407
	v_add_u32_e32 v7, s11, v7                                  // 000000002498: 680E0E0B
	buffer_store_dword v21, v7, s[16:19], 0 offen              // 00000000249C: E0701000 80041507
	buffer_load_dwordx4 v[12:15], v5, s[12:15], 0 offen        // 0000000024A4: E05C1000 80030C05
	v_add_u32_e32 v5, 0x100, v5                                // 0000000024AC: 680A0AFF 00000100
	s_waitcnt vmcnt(0) expcnt(0) lgkmcnt(0)                    // 0000000024B4: BF8C0000
	s_barrier                                                  // 0000000024B8: BF8A0000
	v_cmp_u_f32_e64 s[36:37], v12, v12                         // 0000000024BC: D0480024 0002190C
	v_add3_u32 v29, v12, v32, 1                                // 0000000024C4: D1FF001D 0206410C
	v_cndmask_b32_e64 v26, v29, v31, s[36:37]                  // 0000000024CC: D100001A 00923F1D
	v_cmp_u_f32_e64 s[36:37], v13, v13                         // 0000000024D4: D0480024 00021B0D
	v_add3_u32 v29, v13, v32, 1                                // 0000000024DC: D1FF001D 0206410D
	v_cndmask_b32_e64 v27, v29, v31, s[36:37]                  // 0000000024E4: D100001B 00923F1D
	v_perm_b32 v22, v27, v26, s38                              // 0000000024EC: D1ED0016 009A351B
	v_cmp_u_f32_e64 s[36:37], v14, v14                         // 0000000024F4: D0480024 00021D0E
	v_add3_u32 v29, v14, v32, 1                                // 0000000024FC: D1FF001D 0206410E
	v_cndmask_b32_e64 v26, v29, v31, s[36:37]                  // 000000002504: D100001A 00923F1D
	v_cmp_u_f32_e64 s[36:37], v15, v15                         // 00000000250C: D0480024 00021F0F
	v_add3_u32 v29, v15, v32, 1                                // 000000002514: D1FF001D 0206410F
	v_cndmask_b32_e64 v27, v29, v31, s[36:37]                  // 00000000251C: D100001B 00923F1D
	v_perm_b32 v23, v27, v26, s38                              // 000000002524: D1ED0017 009A351B
	s_nop 1                                                    // 00000000252C: BF800001
	s_mul_i32 s25, s24, 0x100                                  // 000000002530: 9219FF18 00000100
	s_lshl_b32 s25, s25, 2                                     // 000000002538: 8E198219
	v_mov_b32_e32 v26, v0                                      // 00000000253C: 7E340300
	v_lshlrev_b32_e32 v26, 2, v26                              // 000000002540: 24343482
	v_add_u32_e64 v26, v26, s25                                // 000000002544: D134001A 0000331A
	v_add_u32_e32 v27, 0x100, v26                              // 00000000254C: 683634FF 00000100
	ds_write_b32 v26, v22                                      // 000000002554: D81A0000 0000161A
	ds_write_b32 v27, v23                                      // 00000000255C: D81A0000 0000171B
	s_barrier                                                  // 000000002564: BF8A0000
	v_lshrrev_b32_e32 v26, 4, v0                               // 000000002568: 20340084
	v_and_b32_e64 v27, v26, 1                                  // 00000000256C: D113001B 0001031A
	v_lshrrev_b32_e32 v28, 1, v26                              // 000000002574: 20383481
	v_lshlrev_b32_e32 v26, 1, v27                              // 000000002578: 24343681
	v_add_u32_e32 v26, v26, v28                                // 00000000257C: 6834391A
	v_lshlrev_b32_e32 v26, 7, v26                              // 000000002580: 24343487
	v_and_b32_e64 v27, v0, 15                                  // 000000002584: D113001B 00011F00
	v_lshlrev_b32_e32 v27, 2, v27                              // 00000000258C: 24363682
	v_add_u32_e32 v26, v27, v26                                // 000000002590: 6834351B
	v_add_u32_e64 v26, v26, s25                                // 000000002594: D134001A 0000331A
	v_add_u32_e32 v27, 64, v26                                 // 00000000259C: 683634C0
	ds_read_b32 v22, v26                                       // 0000000025A0: D86C0000 1600001A
	ds_read_b32 v23, v27                                       // 0000000025A8: D86C0000 1700001B
	s_barrier                                                  // 0000000025B0: BF8A0000
	s_nop 1                                                    // 0000000025B4: BF800001
	s_mul_i32 s25, s11, 0                                      // 0000000025B8: 9219800B
	s_lshl_b32 s25, s25, 2                                     // 0000000025BC: 8E198219
	s_lshl_b32 s26, 1, 7                                       // 0000000025C0: 8E1A8781
	v_add_u32_e32 v7, s25, v6                                  // 0000000025C4: 680E0C19
	v_add_u32_e32 v7, s26, v7                                  // 0000000025C8: 680E0E1A
	buffer_store_dword v22, v7, s[16:19], 0 offen              // 0000000025CC: E0701000 80041607
	v_add_u32_e32 v7, s11, v7                                  // 0000000025D4: 680E0E0B
	buffer_store_dword v23, v7, s[16:19], 0 offen              // 0000000025D8: E0701000 80041707
	v_mov_b32_e32 v16, 0                                       // 0000000025E0: 7E200280
	v_mov_b32_e32 v17, 0                                       // 0000000025E4: 7E220280
	v_mov_b32_e32 v18, 0                                       // 0000000025E8: 7E240280
	v_mov_b32_e32 v19, 0                                       // 0000000025EC: 7E260280
	s_mov_b64 exec, s[30:31]                                   // 0000000025F0: BEFE011E
	buffer_load_dwordx4 v[16:19], v5, s[12:15], 0 offen        // 0000000025F4: E05C1000 80031005
	s_mov_b64 exec, -1                                         // 0000000025FC: BEFE01C1
	v_add_u32_e32 v5, 0x100, v5                                // 000000002600: 680A0AFF 00000100
	s_waitcnt vmcnt(0) expcnt(0) lgkmcnt(0)                    // 000000002608: BF8C0000
	s_barrier                                                  // 00000000260C: BF8A0000
	v_cmp_u_f32_e64 s[36:37], v16, v16                         // 000000002610: D0480024 00022110
	v_add3_u32 v29, v16, v32, 1                                // 000000002618: D1FF001D 02064110
	v_cndmask_b32_e64 v26, v29, v31, s[36:37]                  // 000000002620: D100001A 00923F1D
	v_cmp_u_f32_e64 s[36:37], v17, v17                         // 000000002628: D0480024 00022311
	v_add3_u32 v29, v17, v32, 1                                // 000000002630: D1FF001D 02064111
	v_cndmask_b32_e64 v27, v29, v31, s[36:37]                  // 000000002638: D100001B 00923F1D
	v_perm_b32 v24, v27, v26, s38                              // 000000002640: D1ED0018 009A351B
	v_cmp_u_f32_e64 s[36:37], v18, v18                         // 000000002648: D0480024 00022512
	v_add3_u32 v29, v18, v32, 1                                // 000000002650: D1FF001D 02064112
	v_cndmask_b32_e64 v26, v29, v31, s[36:37]                  // 000000002658: D100001A 00923F1D
	v_cmp_u_f32_e64 s[36:37], v19, v19                         // 000000002660: D0480024 00022713
	v_add3_u32 v29, v19, v32, 1                                // 000000002668: D1FF001D 02064113
	v_cndmask_b32_e64 v27, v29, v31, s[36:37]                  // 000000002670: D100001B 00923F1D
	v_perm_b32 v25, v27, v26, s38                              // 000000002678: D1ED0019 009A351B
	s_nop 1                                                    // 000000002680: BF800001
	s_mul_i32 s25, s24, 0x100                                  // 000000002684: 9219FF18 00000100
	s_lshl_b32 s25, s25, 2                                     // 00000000268C: 8E198219
	v_mov_b32_e32 v26, v0                                      // 000000002690: 7E340300
	v_lshlrev_b32_e32 v26, 2, v26                              // 000000002694: 24343482
	v_add_u32_e64 v26, v26, s25                                // 000000002698: D134001A 0000331A
	v_add_u32_e32 v27, 0x100, v26                              // 0000000026A0: 683634FF 00000100
	ds_write_b32 v26, v24                                      // 0000000026A8: D81A0000 0000181A
	ds_write_b32 v27, v25                                      // 0000000026B0: D81A0000 0000191B
	s_barrier                                                  // 0000000026B8: BF8A0000
	v_lshrrev_b32_e32 v26, 4, v0                               // 0000000026BC: 20340084
	v_and_b32_e64 v27, v26, 1                                  // 0000000026C0: D113001B 0001031A
	v_lshrrev_b32_e32 v28, 1, v26                              // 0000000026C8: 20383481
	v_lshlrev_b32_e32 v26, 1, v27                              // 0000000026CC: 24343681
	v_add_u32_e32 v26, v26, v28                                // 0000000026D0: 6834391A
	v_lshlrev_b32_e32 v26, 7, v26                              // 0000000026D4: 24343487
	v_and_b32_e64 v27, v0, 15                                  // 0000000026D8: D113001B 00011F00
	v_lshlrev_b32_e32 v27, 2, v27                              // 0000000026E0: 24363682
	v_add_u32_e32 v26, v27, v26                                // 0000000026E4: 6834351B
	v_add_u32_e64 v26, v26, s25                                // 0000000026E8: D134001A 0000331A
	v_add_u32_e32 v27, 64, v26                                 // 0000000026F0: 683634C0
	ds_read_b32 v24, v26                                       // 0000000026F4: D86C0000 1800001A
	ds_read_b32 v25, v27                                       // 0000000026FC: D86C0000 1900001B
	s_barrier                                                  // 000000002704: BF8A0000
	s_nop 1                                                    // 000000002708: BF800001
	s_mul_i32 s25, s11, 0                                      // 00000000270C: 9219800B
	s_lshl_b32 s25, s25, 2                                     // 000000002710: 8E198219
	s_lshl_b32 s26, 2, 7                                       // 000000002714: 8E1A8782
	v_add_u32_e32 v7, s25, v6                                  // 000000002718: 680E0C19
	v_add_u32_e32 v7, s26, v7                                  // 00000000271C: 680E0E1A
	s_mov_b64 exec, s[32:33]                                   // 000000002720: BEFE0120
	buffer_store_dword v24, v7, s[16:19], 0 offen              // 000000002724: E0701000 80041807
	v_add_u32_e32 v7, s11, v7                                  // 00000000272C: 680E0E0B
	buffer_store_dword v25, v7, s[16:19], 0 offen              // 000000002730: E0701000 80041907
	s_mov_b64 exec, -1                                         // 000000002738: BEFE01C1
	s_mul_i32 s25, s8, 1                                       // 00000000273C: 92198108
	s_lshl_b32 s25, s25, 2                                     // 000000002740: 8E198219
	v_add_u32_e32 v5, s25, v4                                  // 000000002744: 680A0819
	buffer_load_dwordx4 v[8:11], v5, s[12:15], 0 offen         // 000000002748: E05C1000 80030805
	v_add_u32_e32 v5, 0x100, v5                                // 000000002750: 680A0AFF 00000100
	s_waitcnt vmcnt(0) expcnt(0) lgkmcnt(0)                    // 000000002758: BF8C0000
	s_barrier                                                  // 00000000275C: BF8A0000
	v_cmp_u_f32_e64 s[36:37], v8, v8                           // 000000002760: D0480024 00021108
	v_add3_u32 v29, v8, v32, 1                                 // 000000002768: D1FF001D 02064108
	v_cndmask_b32_e64 v26, v29, v31, s[36:37]                  // 000000002770: D100001A 00923F1D
	v_cmp_u_f32_e64 s[36:37], v9, v9                           // 000000002778: D0480024 00021309
	v_add3_u32 v29, v9, v32, 1                                 // 000000002780: D1FF001D 02064109
	v_cndmask_b32_e64 v27, v29, v31, s[36:37]                  // 000000002788: D100001B 00923F1D
	v_perm_b32 v20, v27, v26, s38                              // 000000002790: D1ED0014 009A351B
	v_cmp_u_f32_e64 s[36:37], v10, v10                         // 000000002798: D0480024 0002150A
	v_add3_u32 v29, v10, v32, 1                                // 0000000027A0: D1FF001D 0206410A
	v_cndmask_b32_e64 v26, v29, v31, s[36:37]                  // 0000000027A8: D100001A 00923F1D
	v_cmp_u_f32_e64 s[36:37], v11, v11                         // 0000000027B0: D0480024 0002170B
	v_add3_u32 v29, v11, v32, 1                                // 0000000027B8: D1FF001D 0206410B
	v_cndmask_b32_e64 v27, v29, v31, s[36:37]                  // 0000000027C0: D100001B 00923F1D
	v_perm_b32 v21, v27, v26, s38                              // 0000000027C8: D1ED0015 009A351B
	s_nop 1                                                    // 0000000027D0: BF800001
	s_mul_i32 s25, s24, 0x100                                  // 0000000027D4: 9219FF18 00000100
	s_lshl_b32 s25, s25, 2                                     // 0000000027DC: 8E198219
	v_mov_b32_e32 v26, v0                                      // 0000000027E0: 7E340300
	v_lshlrev_b32_e32 v26, 2, v26                              // 0000000027E4: 24343482
	v_add_u32_e64 v26, v26, s25                                // 0000000027E8: D134001A 0000331A
	v_add_u32_e32 v27, 0x100, v26                              // 0000000027F0: 683634FF 00000100
	ds_write_b32 v26, v20                                      // 0000000027F8: D81A0000 0000141A
	ds_write_b32 v27, v21                                      // 000000002800: D81A0000 0000151B
	s_barrier                                                  // 000000002808: BF8A0000
	v_lshrrev_b32_e32 v26, 4, v0                               // 00000000280C: 20340084
	v_and_b32_e64 v27, v26, 1                                  // 000000002810: D113001B 0001031A
	v_lshrrev_b32_e32 v28, 1, v26                              // 000000002818: 20383481
	v_lshlrev_b32_e32 v26, 1, v27                              // 00000000281C: 24343681
	v_add_u32_e32 v26, v26, v28                                // 000000002820: 6834391A
	v_lshlrev_b32_e32 v26, 7, v26                              // 000000002824: 24343487
	v_and_b32_e64 v27, v0, 15                                  // 000000002828: D113001B 00011F00
	v_lshlrev_b32_e32 v27, 2, v27                              // 000000002830: 24363682
	v_add_u32_e32 v26, v27, v26                                // 000000002834: 6834351B
	v_add_u32_e64 v26, v26, s25                                // 000000002838: D134001A 0000331A
	v_add_u32_e32 v27, 64, v26                                 // 000000002840: 683634C0
	ds_read_b32 v20, v26                                       // 000000002844: D86C0000 1400001A
	ds_read_b32 v21, v27                                       // 00000000284C: D86C0000 1500001B
	s_barrier                                                  // 000000002854: BF8A0000
	s_nop 1                                                    // 000000002858: BF800001
	s_mul_i32 s25, s11, 1                                      // 00000000285C: 9219810B
	s_lshl_b32 s25, s25, 2                                     // 000000002860: 8E198219
	s_lshl_b32 s26, 0, 7                                       // 000000002864: 8E1A8780
	v_add_u32_e32 v7, s25, v6                                  // 000000002868: 680E0C19
	v_add_u32_e32 v7, s26, v7                                  // 00000000286C: 680E0E1A
	buffer_store_dword v20, v7, s[16:19], 0 offen              // 000000002870: E0701000 80041407
	v_add_u32_e32 v7, s11, v7                                  // 000000002878: 680E0E0B
	buffer_store_dword v21, v7, s[16:19], 0 offen              // 00000000287C: E0701000 80041507
	buffer_load_dwordx4 v[12:15], v5, s[12:15], 0 offen        // 000000002884: E05C1000 80030C05
	v_add_u32_e32 v5, 0x100, v5                                // 00000000288C: 680A0AFF 00000100
	s_waitcnt vmcnt(0) expcnt(0) lgkmcnt(0)                    // 000000002894: BF8C0000
	s_barrier                                                  // 000000002898: BF8A0000
	v_cmp_u_f32_e64 s[36:37], v12, v12                         // 00000000289C: D0480024 0002190C
	v_add3_u32 v29, v12, v32, 1                                // 0000000028A4: D1FF001D 0206410C
	v_cndmask_b32_e64 v26, v29, v31, s[36:37]                  // 0000000028AC: D100001A 00923F1D
	v_cmp_u_f32_e64 s[36:37], v13, v13                         // 0000000028B4: D0480024 00021B0D
	v_add3_u32 v29, v13, v32, 1                                // 0000000028BC: D1FF001D 0206410D
	v_cndmask_b32_e64 v27, v29, v31, s[36:37]                  // 0000000028C4: D100001B 00923F1D
	v_perm_b32 v22, v27, v26, s38                              // 0000000028CC: D1ED0016 009A351B
	v_cmp_u_f32_e64 s[36:37], v14, v14                         // 0000000028D4: D0480024 00021D0E
	v_add3_u32 v29, v14, v32, 1                                // 0000000028DC: D1FF001D 0206410E
	v_cndmask_b32_e64 v26, v29, v31, s[36:37]                  // 0000000028E4: D100001A 00923F1D
	v_cmp_u_f32_e64 s[36:37], v15, v15                         // 0000000028EC: D0480024 00021F0F
	v_add3_u32 v29, v15, v32, 1                                // 0000000028F4: D1FF001D 0206410F
	v_cndmask_b32_e64 v27, v29, v31, s[36:37]                  // 0000000028FC: D100001B 00923F1D
	v_perm_b32 v23, v27, v26, s38                              // 000000002904: D1ED0017 009A351B
	s_nop 1                                                    // 00000000290C: BF800001
	s_mul_i32 s25, s24, 0x100                                  // 000000002910: 9219FF18 00000100
	s_lshl_b32 s25, s25, 2                                     // 000000002918: 8E198219
	v_mov_b32_e32 v26, v0                                      // 00000000291C: 7E340300
	v_lshlrev_b32_e32 v26, 2, v26                              // 000000002920: 24343482
	v_add_u32_e64 v26, v26, s25                                // 000000002924: D134001A 0000331A
	v_add_u32_e32 v27, 0x100, v26                              // 00000000292C: 683634FF 00000100
	ds_write_b32 v26, v22                                      // 000000002934: D81A0000 0000161A
	ds_write_b32 v27, v23                                      // 00000000293C: D81A0000 0000171B
	s_barrier                                                  // 000000002944: BF8A0000
	v_lshrrev_b32_e32 v26, 4, v0                               // 000000002948: 20340084
	v_and_b32_e64 v27, v26, 1                                  // 00000000294C: D113001B 0001031A
	v_lshrrev_b32_e32 v28, 1, v26                              // 000000002954: 20383481
	v_lshlrev_b32_e32 v26, 1, v27                              // 000000002958: 24343681
	v_add_u32_e32 v26, v26, v28                                // 00000000295C: 6834391A
	v_lshlrev_b32_e32 v26, 7, v26                              // 000000002960: 24343487
	v_and_b32_e64 v27, v0, 15                                  // 000000002964: D113001B 00011F00
	v_lshlrev_b32_e32 v27, 2, v27                              // 00000000296C: 24363682
	v_add_u32_e32 v26, v27, v26                                // 000000002970: 6834351B
	v_add_u32_e64 v26, v26, s25                                // 000000002974: D134001A 0000331A
	v_add_u32_e32 v27, 64, v26                                 // 00000000297C: 683634C0
	ds_read_b32 v22, v26                                       // 000000002980: D86C0000 1600001A
	ds_read_b32 v23, v27                                       // 000000002988: D86C0000 1700001B
	s_barrier                                                  // 000000002990: BF8A0000
	s_nop 1                                                    // 000000002994: BF800001
	s_mul_i32 s25, s11, 1                                      // 000000002998: 9219810B
	s_lshl_b32 s25, s25, 2                                     // 00000000299C: 8E198219
	s_lshl_b32 s26, 1, 7                                       // 0000000029A0: 8E1A8781
	v_add_u32_e32 v7, s25, v6                                  // 0000000029A4: 680E0C19
	v_add_u32_e32 v7, s26, v7                                  // 0000000029A8: 680E0E1A
	buffer_store_dword v22, v7, s[16:19], 0 offen              // 0000000029AC: E0701000 80041607
	v_add_u32_e32 v7, s11, v7                                  // 0000000029B4: 680E0E0B
	buffer_store_dword v23, v7, s[16:19], 0 offen              // 0000000029B8: E0701000 80041707
	v_mov_b32_e32 v16, 0                                       // 0000000029C0: 7E200280
	v_mov_b32_e32 v17, 0                                       // 0000000029C4: 7E220280
	v_mov_b32_e32 v18, 0                                       // 0000000029C8: 7E240280
	v_mov_b32_e32 v19, 0                                       // 0000000029CC: 7E260280
	s_mov_b64 exec, s[30:31]                                   // 0000000029D0: BEFE011E
	buffer_load_dwordx4 v[16:19], v5, s[12:15], 0 offen        // 0000000029D4: E05C1000 80031005
	s_mov_b64 exec, -1                                         // 0000000029DC: BEFE01C1
	v_add_u32_e32 v5, 0x100, v5                                // 0000000029E0: 680A0AFF 00000100
	s_waitcnt vmcnt(0) expcnt(0) lgkmcnt(0)                    // 0000000029E8: BF8C0000
	s_barrier                                                  // 0000000029EC: BF8A0000
	v_cmp_u_f32_e64 s[36:37], v16, v16                         // 0000000029F0: D0480024 00022110
	v_add3_u32 v29, v16, v32, 1                                // 0000000029F8: D1FF001D 02064110
	v_cndmask_b32_e64 v26, v29, v31, s[36:37]                  // 000000002A00: D100001A 00923F1D
	v_cmp_u_f32_e64 s[36:37], v17, v17                         // 000000002A08: D0480024 00022311
	v_add3_u32 v29, v17, v32, 1                                // 000000002A10: D1FF001D 02064111
	v_cndmask_b32_e64 v27, v29, v31, s[36:37]                  // 000000002A18: D100001B 00923F1D
	v_perm_b32 v24, v27, v26, s38                              // 000000002A20: D1ED0018 009A351B
	v_cmp_u_f32_e64 s[36:37], v18, v18                         // 000000002A28: D0480024 00022512
	v_add3_u32 v29, v18, v32, 1                                // 000000002A30: D1FF001D 02064112
	v_cndmask_b32_e64 v26, v29, v31, s[36:37]                  // 000000002A38: D100001A 00923F1D
	v_cmp_u_f32_e64 s[36:37], v19, v19                         // 000000002A40: D0480024 00022713
	v_add3_u32 v29, v19, v32, 1                                // 000000002A48: D1FF001D 02064113
	v_cndmask_b32_e64 v27, v29, v31, s[36:37]                  // 000000002A50: D100001B 00923F1D
	v_perm_b32 v25, v27, v26, s38                              // 000000002A58: D1ED0019 009A351B
	s_nop 1                                                    // 000000002A60: BF800001
	s_mul_i32 s25, s24, 0x100                                  // 000000002A64: 9219FF18 00000100
	s_lshl_b32 s25, s25, 2                                     // 000000002A6C: 8E198219
	v_mov_b32_e32 v26, v0                                      // 000000002A70: 7E340300
	v_lshlrev_b32_e32 v26, 2, v26                              // 000000002A74: 24343482
	v_add_u32_e64 v26, v26, s25                                // 000000002A78: D134001A 0000331A
	v_add_u32_e32 v27, 0x100, v26                              // 000000002A80: 683634FF 00000100
	ds_write_b32 v26, v24                                      // 000000002A88: D81A0000 0000181A
	ds_write_b32 v27, v25                                      // 000000002A90: D81A0000 0000191B
	s_barrier                                                  // 000000002A98: BF8A0000
	v_lshrrev_b32_e32 v26, 4, v0                               // 000000002A9C: 20340084
	v_and_b32_e64 v27, v26, 1                                  // 000000002AA0: D113001B 0001031A
	v_lshrrev_b32_e32 v28, 1, v26                              // 000000002AA8: 20383481
	v_lshlrev_b32_e32 v26, 1, v27                              // 000000002AAC: 24343681
	v_add_u32_e32 v26, v26, v28                                // 000000002AB0: 6834391A
	v_lshlrev_b32_e32 v26, 7, v26                              // 000000002AB4: 24343487
	v_and_b32_e64 v27, v0, 15                                  // 000000002AB8: D113001B 00011F00
	v_lshlrev_b32_e32 v27, 2, v27                              // 000000002AC0: 24363682
	v_add_u32_e32 v26, v27, v26                                // 000000002AC4: 6834351B
	v_add_u32_e64 v26, v26, s25                                // 000000002AC8: D134001A 0000331A
	v_add_u32_e32 v27, 64, v26                                 // 000000002AD0: 683634C0
	ds_read_b32 v24, v26                                       // 000000002AD4: D86C0000 1800001A
	ds_read_b32 v25, v27                                       // 000000002ADC: D86C0000 1900001B
	s_barrier                                                  // 000000002AE4: BF8A0000
	s_nop 1                                                    // 000000002AE8: BF800001
	s_mul_i32 s25, s11, 1                                      // 000000002AEC: 9219810B
	s_lshl_b32 s25, s25, 2                                     // 000000002AF0: 8E198219
	s_lshl_b32 s26, 2, 7                                       // 000000002AF4: 8E1A8782
	v_add_u32_e32 v7, s25, v6                                  // 000000002AF8: 680E0C19
	v_add_u32_e32 v7, s26, v7                                  // 000000002AFC: 680E0E1A
	s_mov_b64 exec, s[32:33]                                   // 000000002B00: BEFE0120
	buffer_store_dword v24, v7, s[16:19], 0 offen              // 000000002B04: E0701000 80041807
	v_add_u32_e32 v7, s11, v7                                  // 000000002B0C: 680E0E0B
	buffer_store_dword v25, v7, s[16:19], 0 offen              // 000000002B10: E0701000 80041907
	s_mov_b64 exec, -1                                         // 000000002B18: BEFE01C1
	s_mul_i32 s25, s8, 2                                       // 000000002B1C: 92198208
	s_lshl_b32 s25, s25, 2                                     // 000000002B20: 8E198219
	v_add_u32_e32 v5, s25, v4                                  // 000000002B24: 680A0819
	buffer_load_dwordx4 v[8:11], v5, s[12:15], 0 offen         // 000000002B28: E05C1000 80030805
	v_add_u32_e32 v5, 0x100, v5                                // 000000002B30: 680A0AFF 00000100
	s_waitcnt vmcnt(0) expcnt(0) lgkmcnt(0)                    // 000000002B38: BF8C0000
	s_barrier                                                  // 000000002B3C: BF8A0000
	v_cmp_u_f32_e64 s[36:37], v8, v8                           // 000000002B40: D0480024 00021108
	v_add3_u32 v29, v8, v32, 1                                 // 000000002B48: D1FF001D 02064108
	v_cndmask_b32_e64 v26, v29, v31, s[36:37]                  // 000000002B50: D100001A 00923F1D
	v_cmp_u_f32_e64 s[36:37], v9, v9                           // 000000002B58: D0480024 00021309
	v_add3_u32 v29, v9, v32, 1                                 // 000000002B60: D1FF001D 02064109
	v_cndmask_b32_e64 v27, v29, v31, s[36:37]                  // 000000002B68: D100001B 00923F1D
	v_perm_b32 v20, v27, v26, s38                              // 000000002B70: D1ED0014 009A351B
	v_cmp_u_f32_e64 s[36:37], v10, v10                         // 000000002B78: D0480024 0002150A
	v_add3_u32 v29, v10, v32, 1                                // 000000002B80: D1FF001D 0206410A
	v_cndmask_b32_e64 v26, v29, v31, s[36:37]                  // 000000002B88: D100001A 00923F1D
	v_cmp_u_f32_e64 s[36:37], v11, v11                         // 000000002B90: D0480024 0002170B
	v_add3_u32 v29, v11, v32, 1                                // 000000002B98: D1FF001D 0206410B
	v_cndmask_b32_e64 v27, v29, v31, s[36:37]                  // 000000002BA0: D100001B 00923F1D
	v_perm_b32 v21, v27, v26, s38                              // 000000002BA8: D1ED0015 009A351B
	s_nop 1                                                    // 000000002BB0: BF800001
	s_mul_i32 s25, s24, 0x100                                  // 000000002BB4: 9219FF18 00000100
	s_lshl_b32 s25, s25, 2                                     // 000000002BBC: 8E198219
	v_mov_b32_e32 v26, v0                                      // 000000002BC0: 7E340300
	v_lshlrev_b32_e32 v26, 2, v26                              // 000000002BC4: 24343482
	v_add_u32_e64 v26, v26, s25                                // 000000002BC8: D134001A 0000331A
	v_add_u32_e32 v27, 0x100, v26                              // 000000002BD0: 683634FF 00000100
	ds_write_b32 v26, v20                                      // 000000002BD8: D81A0000 0000141A
	ds_write_b32 v27, v21                                      // 000000002BE0: D81A0000 0000151B
	s_barrier                                                  // 000000002BE8: BF8A0000
	v_lshrrev_b32_e32 v26, 4, v0                               // 000000002BEC: 20340084
	v_and_b32_e64 v27, v26, 1                                  // 000000002BF0: D113001B 0001031A
	v_lshrrev_b32_e32 v28, 1, v26                              // 000000002BF8: 20383481
	v_lshlrev_b32_e32 v26, 1, v27                              // 000000002BFC: 24343681
	v_add_u32_e32 v26, v26, v28                                // 000000002C00: 6834391A
	v_lshlrev_b32_e32 v26, 7, v26                              // 000000002C04: 24343487
	v_and_b32_e64 v27, v0, 15                                  // 000000002C08: D113001B 00011F00
	v_lshlrev_b32_e32 v27, 2, v27                              // 000000002C10: 24363682
	v_add_u32_e32 v26, v27, v26                                // 000000002C14: 6834351B
	v_add_u32_e64 v26, v26, s25                                // 000000002C18: D134001A 0000331A
	v_add_u32_e32 v27, 64, v26                                 // 000000002C20: 683634C0
	ds_read_b32 v20, v26                                       // 000000002C24: D86C0000 1400001A
	ds_read_b32 v21, v27                                       // 000000002C2C: D86C0000 1500001B
	s_barrier                                                  // 000000002C34: BF8A0000
	s_nop 1                                                    // 000000002C38: BF800001
	s_mul_i32 s25, s11, 2                                      // 000000002C3C: 9219820B
	s_lshl_b32 s25, s25, 2                                     // 000000002C40: 8E198219
	s_lshl_b32 s26, 0, 7                                       // 000000002C44: 8E1A8780
	v_add_u32_e32 v7, s25, v6                                  // 000000002C48: 680E0C19
	v_add_u32_e32 v7, s26, v7                                  // 000000002C4C: 680E0E1A
	buffer_store_dword v20, v7, s[16:19], 0 offen              // 000000002C50: E0701000 80041407
	v_add_u32_e32 v7, s11, v7                                  // 000000002C58: 680E0E0B
	buffer_store_dword v21, v7, s[16:19], 0 offen              // 000000002C5C: E0701000 80041507
	buffer_load_dwordx4 v[12:15], v5, s[12:15], 0 offen        // 000000002C64: E05C1000 80030C05
	v_add_u32_e32 v5, 0x100, v5                                // 000000002C6C: 680A0AFF 00000100
	s_waitcnt vmcnt(0) expcnt(0) lgkmcnt(0)                    // 000000002C74: BF8C0000
	s_barrier                                                  // 000000002C78: BF8A0000
	v_cmp_u_f32_e64 s[36:37], v12, v12                         // 000000002C7C: D0480024 0002190C
	v_add3_u32 v29, v12, v32, 1                                // 000000002C84: D1FF001D 0206410C
	v_cndmask_b32_e64 v26, v29, v31, s[36:37]                  // 000000002C8C: D100001A 00923F1D
	v_cmp_u_f32_e64 s[36:37], v13, v13                         // 000000002C94: D0480024 00021B0D
	v_add3_u32 v29, v13, v32, 1                                // 000000002C9C: D1FF001D 0206410D
	v_cndmask_b32_e64 v27, v29, v31, s[36:37]                  // 000000002CA4: D100001B 00923F1D
	v_perm_b32 v22, v27, v26, s38                              // 000000002CAC: D1ED0016 009A351B
	v_cmp_u_f32_e64 s[36:37], v14, v14                         // 000000002CB4: D0480024 00021D0E
	v_add3_u32 v29, v14, v32, 1                                // 000000002CBC: D1FF001D 0206410E
	v_cndmask_b32_e64 v26, v29, v31, s[36:37]                  // 000000002CC4: D100001A 00923F1D
	v_cmp_u_f32_e64 s[36:37], v15, v15                         // 000000002CCC: D0480024 00021F0F
	v_add3_u32 v29, v15, v32, 1                                // 000000002CD4: D1FF001D 0206410F
	v_cndmask_b32_e64 v27, v29, v31, s[36:37]                  // 000000002CDC: D100001B 00923F1D
	v_perm_b32 v23, v27, v26, s38                              // 000000002CE4: D1ED0017 009A351B
	s_nop 1                                                    // 000000002CEC: BF800001
	s_mul_i32 s25, s24, 0x100                                  // 000000002CF0: 9219FF18 00000100
	s_lshl_b32 s25, s25, 2                                     // 000000002CF8: 8E198219
	v_mov_b32_e32 v26, v0                                      // 000000002CFC: 7E340300
	v_lshlrev_b32_e32 v26, 2, v26                              // 000000002D00: 24343482
	v_add_u32_e64 v26, v26, s25                                // 000000002D04: D134001A 0000331A
	v_add_u32_e32 v27, 0x100, v26                              // 000000002D0C: 683634FF 00000100
	ds_write_b32 v26, v22                                      // 000000002D14: D81A0000 0000161A
	ds_write_b32 v27, v23                                      // 000000002D1C: D81A0000 0000171B
	s_barrier                                                  // 000000002D24: BF8A0000
	v_lshrrev_b32_e32 v26, 4, v0                               // 000000002D28: 20340084
	v_and_b32_e64 v27, v26, 1                                  // 000000002D2C: D113001B 0001031A
	v_lshrrev_b32_e32 v28, 1, v26                              // 000000002D34: 20383481
	v_lshlrev_b32_e32 v26, 1, v27                              // 000000002D38: 24343681
	v_add_u32_e32 v26, v26, v28                                // 000000002D3C: 6834391A
	v_lshlrev_b32_e32 v26, 7, v26                              // 000000002D40: 24343487
	v_and_b32_e64 v27, v0, 15                                  // 000000002D44: D113001B 00011F00
	v_lshlrev_b32_e32 v27, 2, v27                              // 000000002D4C: 24363682
	v_add_u32_e32 v26, v27, v26                                // 000000002D50: 6834351B
	v_add_u32_e64 v26, v26, s25                                // 000000002D54: D134001A 0000331A
	v_add_u32_e32 v27, 64, v26                                 // 000000002D5C: 683634C0
	ds_read_b32 v22, v26                                       // 000000002D60: D86C0000 1600001A
	ds_read_b32 v23, v27                                       // 000000002D68: D86C0000 1700001B
	s_barrier                                                  // 000000002D70: BF8A0000
	s_nop 1                                                    // 000000002D74: BF800001
	s_mul_i32 s25, s11, 2                                      // 000000002D78: 9219820B
	s_lshl_b32 s25, s25, 2                                     // 000000002D7C: 8E198219
	s_lshl_b32 s26, 1, 7                                       // 000000002D80: 8E1A8781
	v_add_u32_e32 v7, s25, v6                                  // 000000002D84: 680E0C19
	v_add_u32_e32 v7, s26, v7                                  // 000000002D88: 680E0E1A
	buffer_store_dword v22, v7, s[16:19], 0 offen              // 000000002D8C: E0701000 80041607
	v_add_u32_e32 v7, s11, v7                                  // 000000002D94: 680E0E0B
	buffer_store_dword v23, v7, s[16:19], 0 offen              // 000000002D98: E0701000 80041707
	v_mov_b32_e32 v16, 0                                       // 000000002DA0: 7E200280
	v_mov_b32_e32 v17, 0                                       // 000000002DA4: 7E220280
	v_mov_b32_e32 v18, 0                                       // 000000002DA8: 7E240280
	v_mov_b32_e32 v19, 0                                       // 000000002DAC: 7E260280
	s_mov_b64 exec, s[30:31]                                   // 000000002DB0: BEFE011E
	buffer_load_dwordx4 v[16:19], v5, s[12:15], 0 offen        // 000000002DB4: E05C1000 80031005
	s_mov_b64 exec, -1                                         // 000000002DBC: BEFE01C1
	v_add_u32_e32 v5, 0x100, v5                                // 000000002DC0: 680A0AFF 00000100
	s_waitcnt vmcnt(0) expcnt(0) lgkmcnt(0)                    // 000000002DC8: BF8C0000
	s_barrier                                                  // 000000002DCC: BF8A0000
	v_cmp_u_f32_e64 s[36:37], v16, v16                         // 000000002DD0: D0480024 00022110
	v_add3_u32 v29, v16, v32, 1                                // 000000002DD8: D1FF001D 02064110
	v_cndmask_b32_e64 v26, v29, v31, s[36:37]                  // 000000002DE0: D100001A 00923F1D
	v_cmp_u_f32_e64 s[36:37], v17, v17                         // 000000002DE8: D0480024 00022311
	v_add3_u32 v29, v17, v32, 1                                // 000000002DF0: D1FF001D 02064111
	v_cndmask_b32_e64 v27, v29, v31, s[36:37]                  // 000000002DF8: D100001B 00923F1D
	v_perm_b32 v24, v27, v26, s38                              // 000000002E00: D1ED0018 009A351B
	v_cmp_u_f32_e64 s[36:37], v18, v18                         // 000000002E08: D0480024 00022512
	v_add3_u32 v29, v18, v32, 1                                // 000000002E10: D1FF001D 02064112
	v_cndmask_b32_e64 v26, v29, v31, s[36:37]                  // 000000002E18: D100001A 00923F1D
	v_cmp_u_f32_e64 s[36:37], v19, v19                         // 000000002E20: D0480024 00022713
	v_add3_u32 v29, v19, v32, 1                                // 000000002E28: D1FF001D 02064113
	v_cndmask_b32_e64 v27, v29, v31, s[36:37]                  // 000000002E30: D100001B 00923F1D
	v_perm_b32 v25, v27, v26, s38                              // 000000002E38: D1ED0019 009A351B
	s_nop 1                                                    // 000000002E40: BF800001
	s_mul_i32 s25, s24, 0x100                                  // 000000002E44: 9219FF18 00000100
	s_lshl_b32 s25, s25, 2                                     // 000000002E4C: 8E198219
	v_mov_b32_e32 v26, v0                                      // 000000002E50: 7E340300
	v_lshlrev_b32_e32 v26, 2, v26                              // 000000002E54: 24343482
	v_add_u32_e64 v26, v26, s25                                // 000000002E58: D134001A 0000331A
	v_add_u32_e32 v27, 0x100, v26                              // 000000002E60: 683634FF 00000100
	ds_write_b32 v26, v24                                      // 000000002E68: D81A0000 0000181A
	ds_write_b32 v27, v25                                      // 000000002E70: D81A0000 0000191B
	s_barrier                                                  // 000000002E78: BF8A0000
	v_lshrrev_b32_e32 v26, 4, v0                               // 000000002E7C: 20340084
	v_and_b32_e64 v27, v26, 1                                  // 000000002E80: D113001B 0001031A
	v_lshrrev_b32_e32 v28, 1, v26                              // 000000002E88: 20383481
	v_lshlrev_b32_e32 v26, 1, v27                              // 000000002E8C: 24343681
	v_add_u32_e32 v26, v26, v28                                // 000000002E90: 6834391A
	v_lshlrev_b32_e32 v26, 7, v26                              // 000000002E94: 24343487
	v_and_b32_e64 v27, v0, 15                                  // 000000002E98: D113001B 00011F00
	v_lshlrev_b32_e32 v27, 2, v27                              // 000000002EA0: 24363682
	v_add_u32_e32 v26, v27, v26                                // 000000002EA4: 6834351B
	v_add_u32_e64 v26, v26, s25                                // 000000002EA8: D134001A 0000331A
	v_add_u32_e32 v27, 64, v26                                 // 000000002EB0: 683634C0
	ds_read_b32 v24, v26                                       // 000000002EB4: D86C0000 1800001A
	ds_read_b32 v25, v27                                       // 000000002EBC: D86C0000 1900001B
	s_barrier                                                  // 000000002EC4: BF8A0000
	s_nop 1                                                    // 000000002EC8: BF800001
	s_mul_i32 s25, s11, 2                                      // 000000002ECC: 9219820B
	s_lshl_b32 s25, s25, 2                                     // 000000002ED0: 8E198219
	s_lshl_b32 s26, 2, 7                                       // 000000002ED4: 8E1A8782
	v_add_u32_e32 v7, s25, v6                                  // 000000002ED8: 680E0C19
	v_add_u32_e32 v7, s26, v7                                  // 000000002EDC: 680E0E1A
	s_mov_b64 exec, s[32:33]                                   // 000000002EE0: BEFE0120
	buffer_store_dword v24, v7, s[16:19], 0 offen              // 000000002EE4: E0701000 80041807
	v_add_u32_e32 v7, s11, v7                                  // 000000002EEC: 680E0E0B
	buffer_store_dword v25, v7, s[16:19], 0 offen              // 000000002EF0: E0701000 80041907
	s_mov_b64 exec, -1                                         // 000000002EF8: BEFE01C1
	s_mul_i32 s25, s8, 3                                       // 000000002EFC: 92198308
	s_lshl_b32 s25, s25, 2                                     // 000000002F00: 8E198219
	v_add_u32_e32 v5, s25, v4                                  // 000000002F04: 680A0819
	buffer_load_dwordx4 v[8:11], v5, s[12:15], 0 offen         // 000000002F08: E05C1000 80030805
	v_add_u32_e32 v5, 0x100, v5                                // 000000002F10: 680A0AFF 00000100
	s_waitcnt vmcnt(0) expcnt(0) lgkmcnt(0)                    // 000000002F18: BF8C0000
	s_barrier                                                  // 000000002F1C: BF8A0000
	v_cmp_u_f32_e64 s[36:37], v8, v8                           // 000000002F20: D0480024 00021108
	v_add3_u32 v29, v8, v32, 1                                 // 000000002F28: D1FF001D 02064108
	v_cndmask_b32_e64 v26, v29, v31, s[36:37]                  // 000000002F30: D100001A 00923F1D
	v_cmp_u_f32_e64 s[36:37], v9, v9                           // 000000002F38: D0480024 00021309
	v_add3_u32 v29, v9, v32, 1                                 // 000000002F40: D1FF001D 02064109
	v_cndmask_b32_e64 v27, v29, v31, s[36:37]                  // 000000002F48: D100001B 00923F1D
	v_perm_b32 v20, v27, v26, s38                              // 000000002F50: D1ED0014 009A351B
	v_cmp_u_f32_e64 s[36:37], v10, v10                         // 000000002F58: D0480024 0002150A
	v_add3_u32 v29, v10, v32, 1                                // 000000002F60: D1FF001D 0206410A
	v_cndmask_b32_e64 v26, v29, v31, s[36:37]                  // 000000002F68: D100001A 00923F1D
	v_cmp_u_f32_e64 s[36:37], v11, v11                         // 000000002F70: D0480024 0002170B
	v_add3_u32 v29, v11, v32, 1                                // 000000002F78: D1FF001D 0206410B
	v_cndmask_b32_e64 v27, v29, v31, s[36:37]                  // 000000002F80: D100001B 00923F1D
	v_perm_b32 v21, v27, v26, s38                              // 000000002F88: D1ED0015 009A351B
	s_nop 1                                                    // 000000002F90: BF800001
	s_mul_i32 s25, s24, 0x100                                  // 000000002F94: 9219FF18 00000100
	s_lshl_b32 s25, s25, 2                                     // 000000002F9C: 8E198219
	v_mov_b32_e32 v26, v0                                      // 000000002FA0: 7E340300
	v_lshlrev_b32_e32 v26, 2, v26                              // 000000002FA4: 24343482
	v_add_u32_e64 v26, v26, s25                                // 000000002FA8: D134001A 0000331A
	v_add_u32_e32 v27, 0x100, v26                              // 000000002FB0: 683634FF 00000100
	ds_write_b32 v26, v20                                      // 000000002FB8: D81A0000 0000141A
	ds_write_b32 v27, v21                                      // 000000002FC0: D81A0000 0000151B
	s_barrier                                                  // 000000002FC8: BF8A0000
	v_lshrrev_b32_e32 v26, 4, v0                               // 000000002FCC: 20340084
	v_and_b32_e64 v27, v26, 1                                  // 000000002FD0: D113001B 0001031A
	v_lshrrev_b32_e32 v28, 1, v26                              // 000000002FD8: 20383481
	v_lshlrev_b32_e32 v26, 1, v27                              // 000000002FDC: 24343681
	v_add_u32_e32 v26, v26, v28                                // 000000002FE0: 6834391A
	v_lshlrev_b32_e32 v26, 7, v26                              // 000000002FE4: 24343487
	v_and_b32_e64 v27, v0, 15                                  // 000000002FE8: D113001B 00011F00
	v_lshlrev_b32_e32 v27, 2, v27                              // 000000002FF0: 24363682
	v_add_u32_e32 v26, v27, v26                                // 000000002FF4: 6834351B
	v_add_u32_e64 v26, v26, s25                                // 000000002FF8: D134001A 0000331A
	v_add_u32_e32 v27, 64, v26                                 // 000000003000: 683634C0
	ds_read_b32 v20, v26                                       // 000000003004: D86C0000 1400001A
	ds_read_b32 v21, v27                                       // 00000000300C: D86C0000 1500001B
	s_barrier                                                  // 000000003014: BF8A0000
	s_nop 1                                                    // 000000003018: BF800001
	s_mul_i32 s25, s11, 3                                      // 00000000301C: 9219830B
	s_lshl_b32 s25, s25, 2                                     // 000000003020: 8E198219
	s_lshl_b32 s26, 0, 7                                       // 000000003024: 8E1A8780
	v_add_u32_e32 v7, s25, v6                                  // 000000003028: 680E0C19
	v_add_u32_e32 v7, s26, v7                                  // 00000000302C: 680E0E1A
	buffer_store_dword v20, v7, s[16:19], 0 offen              // 000000003030: E0701000 80041407
	v_add_u32_e32 v7, s11, v7                                  // 000000003038: 680E0E0B
	buffer_store_dword v21, v7, s[16:19], 0 offen              // 00000000303C: E0701000 80041507
	buffer_load_dwordx4 v[12:15], v5, s[12:15], 0 offen        // 000000003044: E05C1000 80030C05
	v_add_u32_e32 v5, 0x100, v5                                // 00000000304C: 680A0AFF 00000100
	s_waitcnt vmcnt(0) expcnt(0) lgkmcnt(0)                    // 000000003054: BF8C0000
	s_barrier                                                  // 000000003058: BF8A0000
	v_cmp_u_f32_e64 s[36:37], v12, v12                         // 00000000305C: D0480024 0002190C
	v_add3_u32 v29, v12, v32, 1                                // 000000003064: D1FF001D 0206410C
	v_cndmask_b32_e64 v26, v29, v31, s[36:37]                  // 00000000306C: D100001A 00923F1D
	v_cmp_u_f32_e64 s[36:37], v13, v13                         // 000000003074: D0480024 00021B0D
	v_add3_u32 v29, v13, v32, 1                                // 00000000307C: D1FF001D 0206410D
	v_cndmask_b32_e64 v27, v29, v31, s[36:37]                  // 000000003084: D100001B 00923F1D
	v_perm_b32 v22, v27, v26, s38                              // 00000000308C: D1ED0016 009A351B
	v_cmp_u_f32_e64 s[36:37], v14, v14                         // 000000003094: D0480024 00021D0E
	v_add3_u32 v29, v14, v32, 1                                // 00000000309C: D1FF001D 0206410E
	v_cndmask_b32_e64 v26, v29, v31, s[36:37]                  // 0000000030A4: D100001A 00923F1D
	v_cmp_u_f32_e64 s[36:37], v15, v15                         // 0000000030AC: D0480024 00021F0F
	v_add3_u32 v29, v15, v32, 1                                // 0000000030B4: D1FF001D 0206410F
	v_cndmask_b32_e64 v27, v29, v31, s[36:37]                  // 0000000030BC: D100001B 00923F1D
	v_perm_b32 v23, v27, v26, s38                              // 0000000030C4: D1ED0017 009A351B
	s_nop 1                                                    // 0000000030CC: BF800001
	s_mul_i32 s25, s24, 0x100                                  // 0000000030D0: 9219FF18 00000100
	s_lshl_b32 s25, s25, 2                                     // 0000000030D8: 8E198219
	v_mov_b32_e32 v26, v0                                      // 0000000030DC: 7E340300
	v_lshlrev_b32_e32 v26, 2, v26                              // 0000000030E0: 24343482
	v_add_u32_e64 v26, v26, s25                                // 0000000030E4: D134001A 0000331A
	v_add_u32_e32 v27, 0x100, v26                              // 0000000030EC: 683634FF 00000100
	ds_write_b32 v26, v22                                      // 0000000030F4: D81A0000 0000161A
	ds_write_b32 v27, v23                                      // 0000000030FC: D81A0000 0000171B
	s_barrier                                                  // 000000003104: BF8A0000
	v_lshrrev_b32_e32 v26, 4, v0                               // 000000003108: 20340084
	v_and_b32_e64 v27, v26, 1                                  // 00000000310C: D113001B 0001031A
	v_lshrrev_b32_e32 v28, 1, v26                              // 000000003114: 20383481
	v_lshlrev_b32_e32 v26, 1, v27                              // 000000003118: 24343681
	v_add_u32_e32 v26, v26, v28                                // 00000000311C: 6834391A
	v_lshlrev_b32_e32 v26, 7, v26                              // 000000003120: 24343487
	v_and_b32_e64 v27, v0, 15                                  // 000000003124: D113001B 00011F00
	v_lshlrev_b32_e32 v27, 2, v27                              // 00000000312C: 24363682
	v_add_u32_e32 v26, v27, v26                                // 000000003130: 6834351B
	v_add_u32_e64 v26, v26, s25                                // 000000003134: D134001A 0000331A
	v_add_u32_e32 v27, 64, v26                                 // 00000000313C: 683634C0
	ds_read_b32 v22, v26                                       // 000000003140: D86C0000 1600001A
	ds_read_b32 v23, v27                                       // 000000003148: D86C0000 1700001B
	s_barrier                                                  // 000000003150: BF8A0000
	s_nop 1                                                    // 000000003154: BF800001
	s_mul_i32 s25, s11, 3                                      // 000000003158: 9219830B
	s_lshl_b32 s25, s25, 2                                     // 00000000315C: 8E198219
	s_lshl_b32 s26, 1, 7                                       // 000000003160: 8E1A8781
	v_add_u32_e32 v7, s25, v6                                  // 000000003164: 680E0C19
	v_add_u32_e32 v7, s26, v7                                  // 000000003168: 680E0E1A
	buffer_store_dword v22, v7, s[16:19], 0 offen              // 00000000316C: E0701000 80041607
	v_add_u32_e32 v7, s11, v7                                  // 000000003174: 680E0E0B
	buffer_store_dword v23, v7, s[16:19], 0 offen              // 000000003178: E0701000 80041707
	v_mov_b32_e32 v16, 0                                       // 000000003180: 7E200280
	v_mov_b32_e32 v17, 0                                       // 000000003184: 7E220280
	v_mov_b32_e32 v18, 0                                       // 000000003188: 7E240280
	v_mov_b32_e32 v19, 0                                       // 00000000318C: 7E260280
	s_mov_b64 exec, s[30:31]                                   // 000000003190: BEFE011E
	buffer_load_dwordx4 v[16:19], v5, s[12:15], 0 offen        // 000000003194: E05C1000 80031005
	s_mov_b64 exec, -1                                         // 00000000319C: BEFE01C1
	v_add_u32_e32 v5, 0x100, v5                                // 0000000031A0: 680A0AFF 00000100
	s_waitcnt vmcnt(0) expcnt(0) lgkmcnt(0)                    // 0000000031A8: BF8C0000
	s_barrier                                                  // 0000000031AC: BF8A0000
	v_cmp_u_f32_e64 s[36:37], v16, v16                         // 0000000031B0: D0480024 00022110
	v_add3_u32 v29, v16, v32, 1                                // 0000000031B8: D1FF001D 02064110
	v_cndmask_b32_e64 v26, v29, v31, s[36:37]                  // 0000000031C0: D100001A 00923F1D
	v_cmp_u_f32_e64 s[36:37], v17, v17                         // 0000000031C8: D0480024 00022311
	v_add3_u32 v29, v17, v32, 1                                // 0000000031D0: D1FF001D 02064111
	v_cndmask_b32_e64 v27, v29, v31, s[36:37]                  // 0000000031D8: D100001B 00923F1D
	v_perm_b32 v24, v27, v26, s38                              // 0000000031E0: D1ED0018 009A351B
	v_cmp_u_f32_e64 s[36:37], v18, v18                         // 0000000031E8: D0480024 00022512
	v_add3_u32 v29, v18, v32, 1                                // 0000000031F0: D1FF001D 02064112
	v_cndmask_b32_e64 v26, v29, v31, s[36:37]                  // 0000000031F8: D100001A 00923F1D
	v_cmp_u_f32_e64 s[36:37], v19, v19                         // 000000003200: D0480024 00022713
	v_add3_u32 v29, v19, v32, 1                                // 000000003208: D1FF001D 02064113
	v_cndmask_b32_e64 v27, v29, v31, s[36:37]                  // 000000003210: D100001B 00923F1D
	v_perm_b32 v25, v27, v26, s38                              // 000000003218: D1ED0019 009A351B
	s_nop 1                                                    // 000000003220: BF800001
	s_mul_i32 s25, s24, 0x100                                  // 000000003224: 9219FF18 00000100
	s_lshl_b32 s25, s25, 2                                     // 00000000322C: 8E198219
	v_mov_b32_e32 v26, v0                                      // 000000003230: 7E340300
	v_lshlrev_b32_e32 v26, 2, v26                              // 000000003234: 24343482
	v_add_u32_e64 v26, v26, s25                                // 000000003238: D134001A 0000331A
	v_add_u32_e32 v27, 0x100, v26                              // 000000003240: 683634FF 00000100
	ds_write_b32 v26, v24                                      // 000000003248: D81A0000 0000181A
	ds_write_b32 v27, v25                                      // 000000003250: D81A0000 0000191B
	s_barrier                                                  // 000000003258: BF8A0000
	v_lshrrev_b32_e32 v26, 4, v0                               // 00000000325C: 20340084
	v_and_b32_e64 v27, v26, 1                                  // 000000003260: D113001B 0001031A
	v_lshrrev_b32_e32 v28, 1, v26                              // 000000003268: 20383481
	v_lshlrev_b32_e32 v26, 1, v27                              // 00000000326C: 24343681
	v_add_u32_e32 v26, v26, v28                                // 000000003270: 6834391A
	v_lshlrev_b32_e32 v26, 7, v26                              // 000000003274: 24343487
	v_and_b32_e64 v27, v0, 15                                  // 000000003278: D113001B 00011F00
	v_lshlrev_b32_e32 v27, 2, v27                              // 000000003280: 24363682
	v_add_u32_e32 v26, v27, v26                                // 000000003284: 6834351B
	v_add_u32_e64 v26, v26, s25                                // 000000003288: D134001A 0000331A
	v_add_u32_e32 v27, 64, v26                                 // 000000003290: 683634C0
	ds_read_b32 v24, v26                                       // 000000003294: D86C0000 1800001A
	ds_read_b32 v25, v27                                       // 00000000329C: D86C0000 1900001B
	s_barrier                                                  // 0000000032A4: BF8A0000
	s_nop 1                                                    // 0000000032A8: BF800001
	s_mul_i32 s25, s11, 3                                      // 0000000032AC: 9219830B
	s_lshl_b32 s25, s25, 2                                     // 0000000032B0: 8E198219
	s_lshl_b32 s26, 2, 7                                       // 0000000032B4: 8E1A8782
	v_add_u32_e32 v7, s25, v6                                  // 0000000032B8: 680E0C19
	v_add_u32_e32 v7, s26, v7                                  // 0000000032BC: 680E0E1A
	s_mov_b64 exec, s[32:33]                                   // 0000000032C0: BEFE0120
	buffer_store_dword v24, v7, s[16:19], 0 offen              // 0000000032C4: E0701000 80041807
	v_add_u32_e32 v7, s11, v7                                  // 0000000032CC: 680E0E0B
	buffer_store_dword v25, v7, s[16:19], 0 offen              // 0000000032D0: E0701000 80041907
	s_mov_b64 exec, -1                                         // 0000000032D8: BEFE01C1

00000000000032dc <label_0477>:
	s_waitcnt vmcnt(0) expcnt(0) lgkmcnt(0)                    // 0000000032DC: BF8C0000
	s_endpgm                                                   // 0000000032E0: BF810000
